;; amdgpu-corpus repo=ROCm/rocFFT kind=compiled arch=gfx906 opt=O3
	.text
	.amdgcn_target "amdgcn-amd-amdhsa--gfx906"
	.amdhsa_code_object_version 6
	.protected	fft_rtc_back_len432_factors_3_16_3_3_wgs_54_tpt_27_halfLds_half_ip_CI_unitstride_sbrr_C2R_dirReg ; -- Begin function fft_rtc_back_len432_factors_3_16_3_3_wgs_54_tpt_27_halfLds_half_ip_CI_unitstride_sbrr_C2R_dirReg
	.globl	fft_rtc_back_len432_factors_3_16_3_3_wgs_54_tpt_27_halfLds_half_ip_CI_unitstride_sbrr_C2R_dirReg
	.p2align	8
	.type	fft_rtc_back_len432_factors_3_16_3_3_wgs_54_tpt_27_halfLds_half_ip_CI_unitstride_sbrr_C2R_dirReg,@function
fft_rtc_back_len432_factors_3_16_3_3_wgs_54_tpt_27_halfLds_half_ip_CI_unitstride_sbrr_C2R_dirReg: ; @fft_rtc_back_len432_factors_3_16_3_3_wgs_54_tpt_27_halfLds_half_ip_CI_unitstride_sbrr_C2R_dirReg
; %bb.0:
	s_load_dwordx2 s[12:13], s[4:5], 0x50
	s_load_dwordx4 s[8:11], s[4:5], 0x0
	s_load_dwordx2 s[2:3], s[4:5], 0x18
	v_mul_u32_u24_e32 v1, 0x97c, v0
	v_lshrrev_b32_e32 v9, 16, v1
	v_mov_b32_e32 v3, 0
	s_waitcnt lgkmcnt(0)
	v_cmp_lt_u64_e64 s[0:1], s[10:11], 2
	v_mov_b32_e32 v1, 0
	v_lshl_add_u32 v5, s6, 1, v9
	v_mov_b32_e32 v6, v3
	s_and_b64 vcc, exec, s[0:1]
	v_mov_b32_e32 v2, 0
	s_cbranch_vccnz .LBB0_8
; %bb.1:
	s_load_dwordx2 s[0:1], s[4:5], 0x10
	s_add_u32 s6, s2, 8
	s_addc_u32 s7, s3, 0
	v_mov_b32_e32 v1, 0
	v_mov_b32_e32 v2, 0
	s_waitcnt lgkmcnt(0)
	s_add_u32 s14, s0, 8
	s_addc_u32 s15, s1, 0
	s_mov_b64 s[16:17], 1
.LBB0_2:                                ; =>This Inner Loop Header: Depth=1
	s_load_dwordx2 s[18:19], s[14:15], 0x0
                                        ; implicit-def: $vgpr7_vgpr8
	s_waitcnt lgkmcnt(0)
	v_or_b32_e32 v4, s19, v6
	v_cmp_ne_u64_e32 vcc, 0, v[3:4]
	s_and_saveexec_b64 s[0:1], vcc
	s_xor_b64 s[20:21], exec, s[0:1]
	s_cbranch_execz .LBB0_4
; %bb.3:                                ;   in Loop: Header=BB0_2 Depth=1
	v_cvt_f32_u32_e32 v4, s18
	v_cvt_f32_u32_e32 v7, s19
	s_sub_u32 s0, 0, s18
	s_subb_u32 s1, 0, s19
	v_mac_f32_e32 v4, 0x4f800000, v7
	v_rcp_f32_e32 v4, v4
	v_mul_f32_e32 v4, 0x5f7ffffc, v4
	v_mul_f32_e32 v7, 0x2f800000, v4
	v_trunc_f32_e32 v7, v7
	v_mac_f32_e32 v4, 0xcf800000, v7
	v_cvt_u32_f32_e32 v7, v7
	v_cvt_u32_f32_e32 v4, v4
	v_mul_lo_u32 v8, s0, v7
	v_mul_hi_u32 v10, s0, v4
	v_mul_lo_u32 v12, s1, v4
	v_mul_lo_u32 v11, s0, v4
	v_add_u32_e32 v8, v10, v8
	v_add_u32_e32 v8, v8, v12
	v_mul_hi_u32 v10, v4, v11
	v_mul_lo_u32 v12, v4, v8
	v_mul_hi_u32 v14, v4, v8
	v_mul_hi_u32 v13, v7, v11
	v_mul_lo_u32 v11, v7, v11
	v_mul_hi_u32 v15, v7, v8
	v_add_co_u32_e32 v10, vcc, v10, v12
	v_addc_co_u32_e32 v12, vcc, 0, v14, vcc
	v_mul_lo_u32 v8, v7, v8
	v_add_co_u32_e32 v10, vcc, v10, v11
	v_addc_co_u32_e32 v10, vcc, v12, v13, vcc
	v_addc_co_u32_e32 v11, vcc, 0, v15, vcc
	v_add_co_u32_e32 v8, vcc, v10, v8
	v_addc_co_u32_e32 v10, vcc, 0, v11, vcc
	v_add_co_u32_e32 v4, vcc, v4, v8
	v_addc_co_u32_e32 v7, vcc, v7, v10, vcc
	v_mul_lo_u32 v8, s0, v7
	v_mul_hi_u32 v10, s0, v4
	v_mul_lo_u32 v11, s1, v4
	v_mul_lo_u32 v12, s0, v4
	v_add_u32_e32 v8, v10, v8
	v_add_u32_e32 v8, v8, v11
	v_mul_lo_u32 v13, v4, v8
	v_mul_hi_u32 v14, v4, v12
	v_mul_hi_u32 v15, v4, v8
	;; [unrolled: 1-line block ×3, first 2 shown]
	v_mul_lo_u32 v12, v7, v12
	v_mul_hi_u32 v10, v7, v8
	v_add_co_u32_e32 v13, vcc, v14, v13
	v_addc_co_u32_e32 v14, vcc, 0, v15, vcc
	v_mul_lo_u32 v8, v7, v8
	v_add_co_u32_e32 v12, vcc, v13, v12
	v_addc_co_u32_e32 v11, vcc, v14, v11, vcc
	v_addc_co_u32_e32 v10, vcc, 0, v10, vcc
	v_add_co_u32_e32 v8, vcc, v11, v8
	v_addc_co_u32_e32 v10, vcc, 0, v10, vcc
	v_add_co_u32_e32 v4, vcc, v4, v8
	v_addc_co_u32_e32 v10, vcc, v7, v10, vcc
	v_mad_u64_u32 v[7:8], s[0:1], v5, v10, 0
	v_mul_hi_u32 v11, v5, v4
	v_add_co_u32_e32 v12, vcc, v11, v7
	v_addc_co_u32_e32 v13, vcc, 0, v8, vcc
	v_mad_u64_u32 v[7:8], s[0:1], v6, v4, 0
	v_mad_u64_u32 v[10:11], s[0:1], v6, v10, 0
	v_add_co_u32_e32 v4, vcc, v12, v7
	v_addc_co_u32_e32 v4, vcc, v13, v8, vcc
	v_addc_co_u32_e32 v7, vcc, 0, v11, vcc
	v_add_co_u32_e32 v4, vcc, v4, v10
	v_addc_co_u32_e32 v10, vcc, 0, v7, vcc
	v_mul_lo_u32 v11, s19, v4
	v_mul_lo_u32 v12, s18, v10
	v_mad_u64_u32 v[7:8], s[0:1], s18, v4, 0
	v_add3_u32 v8, v8, v12, v11
	v_sub_u32_e32 v11, v6, v8
	v_mov_b32_e32 v12, s19
	v_sub_co_u32_e32 v7, vcc, v5, v7
	v_subb_co_u32_e64 v11, s[0:1], v11, v12, vcc
	v_subrev_co_u32_e64 v12, s[0:1], s18, v7
	v_subbrev_co_u32_e64 v11, s[0:1], 0, v11, s[0:1]
	v_cmp_le_u32_e64 s[0:1], s19, v11
	v_cndmask_b32_e64 v13, 0, -1, s[0:1]
	v_cmp_le_u32_e64 s[0:1], s18, v12
	v_cndmask_b32_e64 v12, 0, -1, s[0:1]
	v_cmp_eq_u32_e64 s[0:1], s19, v11
	v_cndmask_b32_e64 v11, v13, v12, s[0:1]
	v_add_co_u32_e64 v12, s[0:1], 2, v4
	v_addc_co_u32_e64 v13, s[0:1], 0, v10, s[0:1]
	v_add_co_u32_e64 v14, s[0:1], 1, v4
	v_addc_co_u32_e64 v15, s[0:1], 0, v10, s[0:1]
	v_subb_co_u32_e32 v8, vcc, v6, v8, vcc
	v_cmp_ne_u32_e64 s[0:1], 0, v11
	v_cmp_le_u32_e32 vcc, s19, v8
	v_cndmask_b32_e64 v11, v15, v13, s[0:1]
	v_cndmask_b32_e64 v13, 0, -1, vcc
	v_cmp_le_u32_e32 vcc, s18, v7
	v_cndmask_b32_e64 v7, 0, -1, vcc
	v_cmp_eq_u32_e32 vcc, s19, v8
	v_cndmask_b32_e32 v7, v13, v7, vcc
	v_cmp_ne_u32_e32 vcc, 0, v7
	v_cndmask_b32_e64 v7, v14, v12, s[0:1]
	v_cndmask_b32_e32 v8, v10, v11, vcc
	v_cndmask_b32_e32 v7, v4, v7, vcc
.LBB0_4:                                ;   in Loop: Header=BB0_2 Depth=1
	s_andn2_saveexec_b64 s[0:1], s[20:21]
	s_cbranch_execz .LBB0_6
; %bb.5:                                ;   in Loop: Header=BB0_2 Depth=1
	v_cvt_f32_u32_e32 v4, s18
	s_sub_i32 s20, 0, s18
	v_rcp_iflag_f32_e32 v4, v4
	v_mul_f32_e32 v4, 0x4f7ffffe, v4
	v_cvt_u32_f32_e32 v4, v4
	v_mul_lo_u32 v7, s20, v4
	v_mul_hi_u32 v7, v4, v7
	v_add_u32_e32 v4, v4, v7
	v_mul_hi_u32 v4, v5, v4
	v_mul_lo_u32 v7, v4, s18
	v_add_u32_e32 v8, 1, v4
	v_sub_u32_e32 v7, v5, v7
	v_subrev_u32_e32 v10, s18, v7
	v_cmp_le_u32_e32 vcc, s18, v7
	v_cndmask_b32_e32 v7, v7, v10, vcc
	v_cndmask_b32_e32 v4, v4, v8, vcc
	v_add_u32_e32 v8, 1, v4
	v_cmp_le_u32_e32 vcc, s18, v7
	v_cndmask_b32_e32 v7, v4, v8, vcc
	v_mov_b32_e32 v8, v3
.LBB0_6:                                ;   in Loop: Header=BB0_2 Depth=1
	s_or_b64 exec, exec, s[0:1]
	v_mul_lo_u32 v4, v8, s18
	v_mul_lo_u32 v12, v7, s19
	v_mad_u64_u32 v[10:11], s[0:1], v7, s18, 0
	s_load_dwordx2 s[0:1], s[6:7], 0x0
	s_add_u32 s16, s16, 1
	v_add3_u32 v4, v11, v12, v4
	v_sub_co_u32_e32 v5, vcc, v5, v10
	v_subb_co_u32_e32 v4, vcc, v6, v4, vcc
	s_waitcnt lgkmcnt(0)
	v_mul_lo_u32 v4, s0, v4
	v_mul_lo_u32 v6, s1, v5
	v_mad_u64_u32 v[1:2], s[0:1], s0, v5, v[1:2]
	s_addc_u32 s17, s17, 0
	s_add_u32 s6, s6, 8
	v_add3_u32 v2, v6, v2, v4
	v_mov_b32_e32 v4, s10
	v_mov_b32_e32 v5, s11
	s_addc_u32 s7, s7, 0
	v_cmp_ge_u64_e32 vcc, s[16:17], v[4:5]
	s_add_u32 s14, s14, 8
	s_addc_u32 s15, s15, 0
	s_cbranch_vccnz .LBB0_9
; %bb.7:                                ;   in Loop: Header=BB0_2 Depth=1
	v_mov_b32_e32 v5, v7
	v_mov_b32_e32 v6, v8
	s_branch .LBB0_2
.LBB0_8:
	v_mov_b32_e32 v8, v6
	v_mov_b32_e32 v7, v5
.LBB0_9:
	s_lshl_b64 s[0:1], s[10:11], 3
	s_add_u32 s0, s2, s0
	s_addc_u32 s1, s3, s1
	s_load_dwordx2 s[2:3], s[0:1], 0x0
	s_load_dwordx2 s[6:7], s[4:5], 0x20
	v_and_b32_e32 v5, 1, v9
	v_mov_b32_e32 v6, 0x1b1
	v_cmp_eq_u32_e32 vcc, 1, v5
	s_waitcnt lgkmcnt(0)
	v_mul_lo_u32 v3, s2, v8
	v_mul_lo_u32 v4, s3, v7
	v_mad_u64_u32 v[1:2], s[0:1], s2, v7, v[1:2]
	s_mov_b32 s0, 0x97b425f
	v_cndmask_b32_e32 v23, 0, v6, vcc
	v_add3_u32 v2, v4, v2, v3
	v_mul_hi_u32 v3, v0, s0
	v_cmp_gt_u64_e32 vcc, s[6:7], v[7:8]
	v_lshlrev_b32_e32 v24, 2, v23
	v_mul_u32_u24_e32 v3, 27, v3
	v_sub_u32_e32 v0, v0, v3
	v_lshlrev_b64 v[2:3], 2, v[1:2]
	s_and_saveexec_b64 s[2:3], vcc
	s_cbranch_execz .LBB0_13
; %bb.10:
	v_mov_b32_e32 v1, 0
	v_mov_b32_e32 v5, s13
	v_add_co_u32_e64 v4, s[0:1], s12, v2
	v_lshlrev_b64 v[6:7], 2, v[0:1]
	v_addc_co_u32_e64 v5, s[0:1], v5, v3, s[0:1]
	v_add_co_u32_e64 v6, s[0:1], v4, v6
	v_addc_co_u32_e64 v7, s[0:1], v5, v7, s[0:1]
	global_load_dword v8, v[6:7], off
	global_load_dword v9, v[6:7], off offset:108
	global_load_dword v10, v[6:7], off offset:216
	;; [unrolled: 1-line block ×14, first 2 shown]
	s_nop 0
	global_load_dword v6, v[6:7], off offset:1620
	v_lshlrev_b32_e32 v1, 2, v0
	v_add3_u32 v1, 0, v24, v1
	v_cmp_eq_u32_e64 s[0:1], 26, v0
	v_add_u32_e32 v7, 0x400, v1
	s_waitcnt vmcnt(14)
	ds_write2_b32 v1, v8, v9 offset1:27
	s_waitcnt vmcnt(12)
	ds_write2_b32 v1, v10, v11 offset0:54 offset1:81
	s_waitcnt vmcnt(10)
	ds_write2_b32 v1, v12, v13 offset0:108 offset1:135
	;; [unrolled: 2-line block ×7, first 2 shown]
	s_and_saveexec_b64 s[4:5], s[0:1]
	s_cbranch_execz .LBB0_12
; %bb.11:
	global_load_dword v0, v[4:5], off offset:1728
	s_waitcnt vmcnt(0)
	ds_write_b32 v1, v0 offset:1624
	v_mov_b32_e32 v0, 26
.LBB0_12:
	s_or_b64 exec, exec, s[4:5]
.LBB0_13:
	s_or_b64 exec, exec, s[2:3]
	v_lshl_add_u32 v22, v23, 2, 0
	v_lshlrev_b32_e32 v1, 2, v0
	v_add_u32_e32 v25, v22, v1
	s_waitcnt lgkmcnt(0)
	; wave barrier
	s_waitcnt lgkmcnt(0)
	v_sub_u32_e32 v6, v22, v1
	ds_read_u16 v9, v25
	ds_read_u16 v10, v6 offset:1728
	v_cmp_ne_u32_e64 s[0:1], 0, v0
                                        ; implicit-def: $vgpr4_vgpr5
	s_waitcnt lgkmcnt(0)
	v_add_f16_e32 v7, v10, v9
	v_sub_f16_e32 v8, v9, v10
	s_and_saveexec_b64 s[2:3], s[0:1]
	s_xor_b64 s[2:3], exec, s[2:3]
	s_cbranch_execz .LBB0_15
; %bb.14:
	v_mov_b32_e32 v1, 0
	v_lshlrev_b64 v[4:5], 2, v[0:1]
	v_mov_b32_e32 v7, s9
	v_add_co_u32_e64 v4, s[0:1], s8, v4
	v_addc_co_u32_e64 v5, s[0:1], v7, v5, s[0:1]
	global_load_dword v4, v[4:5], off offset:1716
	ds_read_u16 v5, v6 offset:1730
	ds_read_u16 v7, v25 offset:2
	v_add_f16_e32 v8, v10, v9
	v_sub_f16_e32 v9, v9, v10
	s_waitcnt lgkmcnt(0)
	v_add_f16_e32 v10, v5, v7
	v_sub_f16_e32 v5, v7, v5
	s_waitcnt vmcnt(0)
	v_lshrrev_b32_e32 v7, 16, v4
	v_fma_f16 v11, v9, v7, v8
	v_fma_f16 v12, v10, v7, v5
	v_fma_f16 v13, -v9, v7, v8
	v_fma_f16 v5, v10, v7, -v5
	v_fma_f16 v7, -v4, v10, v11
	v_fma_f16 v8, v9, v4, v12
	v_fma_f16 v10, v4, v10, v13
	;; [unrolled: 1-line block ×3, first 2 shown]
	v_pack_b32_f16 v4, v10, v4
	ds_write_b32 v6, v4 offset:1728
	v_mov_b32_e32 v5, v1
	v_mov_b32_e32 v4, v0
.LBB0_15:
	s_andn2_saveexec_b64 s[0:1], s[2:3]
	s_cbranch_execz .LBB0_17
; %bb.16:
	ds_read_b32 v1, v22 offset:864
	s_mov_b32 s2, 0xc0004000
	v_mov_b32_e32 v4, 0
	v_mov_b32_e32 v5, 0
	s_waitcnt lgkmcnt(0)
	v_pk_mul_f16 v1, v1, s2
	ds_write_b32 v22, v1 offset:864
.LBB0_17:
	s_or_b64 exec, exec, s[0:1]
	s_add_u32 s0, s8, 0x6b4
	v_lshlrev_b64 v[4:5], 2, v[4:5]
	s_addc_u32 s1, s9, 0
	v_mov_b32_e32 v1, s1
	v_add_co_u32_e64 v4, s[0:1], s0, v4
	v_addc_co_u32_e64 v5, s[0:1], v1, v5, s[0:1]
	global_load_dword v1, v[4:5], off offset:108
	global_load_dword v9, v[4:5], off offset:216
	;; [unrolled: 1-line block ×4, first 2 shown]
	s_mov_b32 s0, 0x5040100
	v_perm_b32 v7, v8, v7, s0
	ds_write_b32 v25, v7
	ds_read_b32 v7, v25 offset:108
	ds_read_b32 v8, v6 offset:1620
	global_load_dword v12, v[4:5], off offset:540
	global_load_dword v13, v[4:5], off offset:648
	global_load_dword v14, v[4:5], off offset:756
	v_lshl_add_u32 v26, v0, 2, 0
	s_movk_i32 s0, 0x3aee
	s_mov_b32 s1, 0xffff
	s_waitcnt lgkmcnt(0)
	v_add_f16_e32 v4, v7, v8
	v_add_f16_sdwa v5, v8, v7 dst_sel:DWORD dst_unused:UNUSED_PAD src0_sel:WORD_1 src1_sel:WORD_1
	v_sub_f16_e32 v15, v7, v8
	v_sub_f16_sdwa v7, v7, v8 dst_sel:DWORD dst_unused:UNUSED_PAD src0_sel:WORD_1 src1_sel:WORD_1
	s_waitcnt vmcnt(6)
	v_lshrrev_b32_e32 v8, 16, v1
	v_fma_f16 v16, v15, v8, v4
	v_fma_f16 v17, v5, v8, v7
	v_fma_f16 v4, -v15, v8, v4
	v_fma_f16 v7, v5, v8, -v7
	v_fma_f16 v8, -v1, v5, v16
	v_fma_f16 v16, v15, v1, v17
	v_fma_f16 v4, v1, v5, v4
	v_fma_f16 v1, v15, v1, v7
	v_pack_b32_f16 v5, v8, v16
	v_pack_b32_f16 v1, v4, v1
	ds_write_b32 v25, v5 offset:108
	ds_write_b32 v6, v1 offset:1620
	ds_read_b32 v1, v25 offset:216
	ds_read_b32 v4, v6 offset:1512
	s_waitcnt vmcnt(5)
	v_lshrrev_b32_e32 v5, 16, v9
	s_waitcnt lgkmcnt(0)
	v_add_f16_e32 v7, v1, v4
	v_add_f16_sdwa v8, v4, v1 dst_sel:DWORD dst_unused:UNUSED_PAD src0_sel:WORD_1 src1_sel:WORD_1
	v_sub_f16_e32 v15, v1, v4
	v_sub_f16_sdwa v1, v1, v4 dst_sel:DWORD dst_unused:UNUSED_PAD src0_sel:WORD_1 src1_sel:WORD_1
	v_fma_f16 v4, v15, v5, v7
	v_fma_f16 v16, v8, v5, v1
	v_fma_f16 v7, -v15, v5, v7
	v_fma_f16 v1, v8, v5, -v1
	v_fma_f16 v4, -v9, v8, v4
	v_fma_f16 v5, v15, v9, v16
	v_fma_f16 v7, v9, v8, v7
	v_fma_f16 v1, v15, v9, v1
	v_pack_b32_f16 v4, v4, v5
	v_pack_b32_f16 v1, v7, v1
	ds_write_b32 v25, v4 offset:216
	ds_write_b32 v6, v1 offset:1512
	ds_read_b32 v1, v25 offset:324
	ds_read_b32 v4, v6 offset:1404
	s_waitcnt vmcnt(4)
	v_lshrrev_b32_e32 v5, 16, v10
	s_waitcnt lgkmcnt(0)
	v_add_f16_e32 v7, v1, v4
	v_add_f16_sdwa v8, v4, v1 dst_sel:DWORD dst_unused:UNUSED_PAD src0_sel:WORD_1 src1_sel:WORD_1
	v_sub_f16_e32 v9, v1, v4
	v_sub_f16_sdwa v1, v1, v4 dst_sel:DWORD dst_unused:UNUSED_PAD src0_sel:WORD_1 src1_sel:WORD_1
	;; [unrolled: 21-line block ×6, first 2 shown]
	v_fma_f16 v4, v9, v5, v7
	v_fma_f16 v10, v8, v5, v1
	v_fma_f16 v7, -v9, v5, v7
	v_fma_f16 v1, v8, v5, -v1
	v_fma_f16 v4, -v14, v8, v4
	v_fma_f16 v5, v9, v14, v10
	v_fma_f16 v7, v14, v8, v7
	;; [unrolled: 1-line block ×3, first 2 shown]
	v_pack_b32_f16 v4, v4, v5
	v_pack_b32_f16 v1, v7, v1
	ds_write_b32 v25, v4 offset:756
	ds_write_b32 v6, v1 offset:972
	v_add_u32_e32 v1, v26, v24
	s_waitcnt lgkmcnt(0)
	; wave barrier
	s_waitcnt lgkmcnt(0)
	s_waitcnt lgkmcnt(0)
	; wave barrier
	s_waitcnt lgkmcnt(0)
	v_add_u32_e32 v14, 0x400, v1
	ds_read2_b32 v[8:9], v1 offset0:27 offset1:54
	ds_read2_b32 v[6:7], v1 offset0:171 offset1:198
	;; [unrolled: 1-line block ×4, first 2 shown]
	s_waitcnt lgkmcnt(2)
	v_pk_add_f16 v12, v8, v6
	s_waitcnt lgkmcnt(1)
	v_pk_add_f16 v13, v12, v10
	v_pk_add_f16 v12, v6, v10
	v_pk_add_f16 v17, v6, v10 neg_lo:[0,1] neg_hi:[0,1]
	v_pk_add_f16 v6, v9, v7
	v_pk_add_f16 v18, v6, v11
	;; [unrolled: 1-line block ×3, first 2 shown]
	v_pk_add_f16 v19, v7, v11 neg_lo:[0,1] neg_hi:[0,1]
	ds_read2_b32 v[6:7], v14 offset0:23 offset1:32
	ds_read_b32 v11, v25
	v_pk_fma_f16 v21, v10, 0.5, v9 op_sel_hi:[1,0,1] neg_lo:[1,0,0] neg_hi:[1,0,0]
	v_pk_fma_f16 v20, v12, 0.5, v8 op_sel_hi:[1,0,1] neg_lo:[1,0,0] neg_hi:[1,0,0]
	ds_read_b32 v8, v1 offset:1692
	s_waitcnt lgkmcnt(2)
	v_pk_add_f16 v9, v5, v7
	v_pk_add_f16 v10, v5, v7 neg_lo:[0,1] neg_hi:[0,1]
	s_waitcnt lgkmcnt(1)
	v_pk_fma_f16 v9, v9, 0.5, v11 op_sel_hi:[1,0,1] neg_lo:[1,0,0] neg_hi:[1,0,0]
	v_pk_mul_f16 v10, v10, s0 op_sel_hi:[1,0]
	v_pk_add_f16 v5, v11, v5
	v_pk_add_f16 v27, v9, v10 op_sel:[0,1] op_sel_hi:[1,0] neg_lo:[0,1] neg_hi:[0,1]
	v_pk_add_f16 v28, v9, v10 op_sel:[0,1] op_sel_hi:[1,0]
	v_pk_add_f16 v5, v5, v7
	v_lshl_add_u32 v7, v0, 3, v26
	v_add_u32_e32 v29, v7, v24
	v_bfi_b32 v30, s1, v27, v28
	ds_read2_b32 v[9:10], v1 offset0:81 offset1:108
	ds_read2_b32 v[11:12], v1 offset0:225 offset1:252
	;; [unrolled: 1-line block ×3, first 2 shown]
	s_waitcnt lgkmcnt(0)
	; wave barrier
	s_waitcnt lgkmcnt(0)
	ds_write2_b32 v29, v5, v30 offset1:1
	v_pk_mul_f16 v5, v17, s0 op_sel_hi:[1,0]
	v_pk_add_f16 v17, v20, v5 op_sel:[0,1] op_sel_hi:[1,0] neg_lo:[0,1] neg_hi:[0,1]
	v_pk_add_f16 v5, v20, v5 op_sel:[0,1] op_sel_hi:[1,0]
	v_bfi_b32 v20, s1, v17, v5
	ds_write2_b32 v29, v13, v20 offset0:81 offset1:82
	v_bfi_b32 v13, s1, v28, v27
	v_bfi_b32 v5, s1, v5, v17
	ds_write2_b32 v29, v13, v5 offset0:2 offset1:83
	v_pk_mul_f16 v5, v19, s0 op_sel_hi:[1,0]
	v_pk_add_f16 v13, v21, v5 op_sel:[0,1] op_sel_hi:[1,0] neg_lo:[0,1] neg_hi:[0,1]
	v_pk_add_f16 v5, v21, v5 op_sel:[0,1] op_sel_hi:[1,0]
	v_bfi_b32 v17, s1, v13, v5
	v_bfi_b32 v5, s1, v5, v13
	v_pk_add_f16 v13, v9, v11
	v_pk_add_f16 v13, v13, v15
	ds_write2_b32 v29, v5, v13 offset0:164 offset1:243
	v_pk_add_f16 v5, v11, v15
	v_pk_fma_f16 v5, v5, 0.5, v9 op_sel_hi:[1,0,1] neg_lo:[1,0,0] neg_hi:[1,0,0]
	v_pk_add_f16 v9, v11, v15 neg_lo:[0,1] neg_hi:[0,1]
	v_pk_mul_f16 v9, v9, s0 op_sel_hi:[1,0]
	v_pk_add_f16 v11, v5, v9 op_sel:[0,1] op_sel_hi:[1,0] neg_lo:[0,1] neg_hi:[0,1]
	v_pk_add_f16 v5, v5, v9 op_sel:[0,1] op_sel_hi:[1,0]
	v_bfi_b32 v9, s1, v11, v5
	v_bfi_b32 v5, s1, v5, v11
	ds_write2_b32 v29, v9, v5 offset0:244 offset1:245
	v_pk_add_f16 v5, v10, v12
	v_pk_add_f16 v9, v12, v16
	v_pk_add_f16 v11, v12, v16 neg_lo:[0,1] neg_hi:[0,1]
	v_pk_add_f16 v12, v6, v8
	v_pk_fma_f16 v12, v12, 0.5, v4 op_sel_hi:[1,0,1] neg_lo:[1,0,0] neg_hi:[1,0,0]
	v_pk_add_f16 v13, v6, v8 neg_lo:[0,1] neg_hi:[0,1]
	v_add_u32_e32 v7, 0x510, v7
	v_pk_add_f16 v5, v5, v16
	v_pk_fma_f16 v27, v13, s0, v12 op_sel:[0,0,1] op_sel_hi:[1,0,0] neg_lo:[1,0,0] neg_hi:[1,0,0]
	v_pk_fma_f16 v28, v13, s0, v12 op_sel:[0,0,1] op_sel_hi:[1,0,0]
	v_add_u32_e32 v12, v7, v24
	ds_write2_b32 v29, v18, v17 offset0:162 offset1:163
	ds_write_b32 v12, v5
	v_pk_fma_f16 v5, v9, 0.5, v10 op_sel_hi:[1,0,1] neg_lo:[1,0,0] neg_hi:[1,0,0]
	v_pk_mul_f16 v9, v11, s0 op_sel_hi:[1,0]
	v_pk_add_f16 v10, v5, v9 op_sel:[0,1] op_sel_hi:[1,0] neg_lo:[0,1] neg_hi:[0,1]
	v_pk_add_f16 v5, v5, v9 op_sel:[0,1] op_sel_hi:[1,0]
	v_bfi_b32 v9, s1, v10, v5
	v_bfi_b32 v10, s1, v5, v10
	v_lshrrev_b32_e32 v5, 16, v27
	v_cmp_gt_u32_e64 s[0:1], 9, v0
	ds_write2_b32 v12, v9, v10 offset0:1 offset1:2
	s_and_saveexec_b64 s[2:3], s[0:1]
	s_cbranch_execz .LBB0_19
; %bb.18:
	v_pk_add_f16 v4, v4, v6
	v_lshl_add_u32 v7, v23, 2, v7
	v_pk_add_f16 v4, v4, v8
	ds_write_b32 v7, v4 offset:324
	ds_write_b16 v7, v5 offset:328
	ds_write_b32 v7, v28 offset:330
	ds_write_b16 v7, v27 offset:334
.LBB0_19:
	s_or_b64 exec, exec, s[2:3]
	s_movk_i32 s4, 0xab
	v_mul_lo_u16_sdwa v4, v0, s4 dst_sel:DWORD dst_unused:UNUSED_PAD src0_sel:BYTE_0 src1_sel:DWORD
	v_lshrrev_b16_e32 v4, 9, v4
	v_mul_lo_u16_e32 v6, 3, v4
	v_sub_u16_e32 v6, v0, v6
	v_mov_b32_e32 v7, 15
	v_mul_u32_u24_sdwa v7, v6, v7 dst_sel:DWORD dst_unused:UNUSED_PAD src0_sel:BYTE_0 src1_sel:DWORD
	v_lshlrev_b32_e32 v21, 2, v7
	s_waitcnt lgkmcnt(0)
	; wave barrier
	s_waitcnt lgkmcnt(0)
	global_load_dwordx4 v[7:10], v21, s[8:9]
	global_load_dwordx4 v[15:18], v21, s[8:9] offset:16
	ds_read2_b32 v[11:12], v1 offset0:27 offset1:54
	ds_read2_b32 v[19:20], v1 offset0:81 offset1:108
	;; [unrolled: 1-line block ×4, first 2 shown]
	s_mov_b32 s2, 0xb9a8
	s_waitcnt lgkmcnt(3)
	v_lshrrev_b32_e32 v13, 16, v11
	v_lshrrev_b32_e32 v33, 16, v12
	s_waitcnt lgkmcnt(2)
	v_lshrrev_b32_e32 v34, 16, v19
	v_lshrrev_b32_e32 v35, 16, v20
	s_movk_i32 s3, 0x39a8
	s_mov_b32 s5, 0xbb64
	s_movk_i32 s6, 0x361f
	s_mov_b32 s7, 0xb61f
	v_mul_u32_u24_e32 v4, 48, v4
	v_or_b32_sdwa v4, v4, v6 dst_sel:DWORD dst_unused:UNUSED_PAD src0_sel:DWORD src1_sel:BYTE_0
	v_lshlrev_b32_e32 v4, 2, v4
	s_movk_i32 s10, 0x3b64
	s_waitcnt vmcnt(1)
	v_mul_f16_sdwa v36, v7, v13 dst_sel:DWORD dst_unused:UNUSED_PAD src0_sel:WORD_1 src1_sel:DWORD
	v_mul_f16_sdwa v37, v7, v11 dst_sel:DWORD dst_unused:UNUSED_PAD src0_sel:WORD_1 src1_sel:DWORD
	;; [unrolled: 1-line block ×4, first 2 shown]
	v_fma_f16 v36, v7, v11, v36
	v_mul_f16_sdwa v11, v35, v10 dst_sel:DWORD dst_unused:UNUSED_PAD src0_sel:DWORD src1_sel:WORD_1
	v_mul_f16_sdwa v39, v8, v12 dst_sel:DWORD dst_unused:UNUSED_PAD src0_sel:WORD_1 src1_sel:DWORD
	v_fma_f16 v38, v8, v12, v38
	v_mul_f16_sdwa v12, v9, v19 dst_sel:DWORD dst_unused:UNUSED_PAD src0_sel:WORD_1 src1_sel:DWORD
	v_fma_f16 v19, v9, v19, v40
	v_fma_f16 v40, v20, v10, v11
	v_mul_f16_sdwa v11, v20, v10 dst_sel:DWORD dst_unused:UNUSED_PAD src0_sel:DWORD src1_sel:WORD_1
	s_waitcnt lgkmcnt(1)
	v_lshrrev_b32_e32 v20, 16, v29
	v_fma_f16 v37, v7, v13, -v37
	v_lshrrev_b32_e32 v7, 16, v30
	v_fma_f16 v33, v8, v33, -v39
	s_waitcnt lgkmcnt(0)
	v_lshrrev_b32_e32 v8, 16, v31
	v_fma_f16 v34, v9, v34, -v12
	v_lshrrev_b32_e32 v12, 16, v32
	v_fma_f16 v35, v35, v10, -v11
	s_waitcnt vmcnt(0)
	v_mul_f16_sdwa v9, v20, v15 dst_sel:DWORD dst_unused:UNUSED_PAD src0_sel:DWORD src1_sel:WORD_1
	v_mul_f16_sdwa v10, v7, v16 dst_sel:DWORD dst_unused:UNUSED_PAD src0_sel:DWORD src1_sel:WORD_1
	;; [unrolled: 1-line block ×5, first 2 shown]
	v_fma_f16 v29, v29, v15, v9
	v_fma_f16 v30, v30, v16, v10
	v_mul_f16_sdwa v9, v12, v18 dst_sel:DWORD dst_unused:UNUSED_PAD src0_sel:DWORD src1_sel:WORD_1
	v_mul_f16_sdwa v10, v31, v17 dst_sel:DWORD dst_unused:UNUSED_PAD src0_sel:DWORD src1_sel:WORD_1
	v_fma_f16 v31, v31, v17, v39
	v_fma_f16 v39, v32, v18, v9
	v_fma_f16 v15, v20, v15, -v11
	v_fma_f16 v17, v8, v17, -v10
	global_load_dwordx4 v[8:11], v21, s[8:9] offset:32
	v_mul_f16_sdwa v32, v32, v18 dst_sel:DWORD dst_unused:UNUSED_PAD src0_sel:DWORD src1_sel:WORD_1
	v_fma_f16 v16, v7, v16, -v13
	v_add_u32_e32 v7, 0x200, v1
	v_fma_f16 v18, v12, v18, -v32
	ds_read2_b32 v[12:13], v7 offset0:115 offset1:142
	s_waitcnt lgkmcnt(0)
	v_lshrrev_b32_e32 v20, 16, v12
	v_lshrrev_b32_e32 v41, 16, v13
	s_waitcnt vmcnt(0)
	v_mul_f16_sdwa v32, v20, v8 dst_sel:DWORD dst_unused:UNUSED_PAD src0_sel:DWORD src1_sel:WORD_1
	v_mul_f16_sdwa v42, v41, v9 dst_sel:DWORD dst_unused:UNUSED_PAD src0_sel:DWORD src1_sel:WORD_1
	v_fma_f16 v32, v12, v8, v32
	v_fma_f16 v42, v13, v9, v42
	v_mul_f16_sdwa v43, v12, v8 dst_sel:DWORD dst_unused:UNUSED_PAD src0_sel:DWORD src1_sel:WORD_1
	v_mul_f16_sdwa v44, v13, v9 dst_sel:DWORD dst_unused:UNUSED_PAD src0_sel:DWORD src1_sel:WORD_1
	ds_read2_b32 v[12:13], v14 offset0:41 offset1:68
	v_fma_f16 v20, v20, v8, -v43
	v_fma_f16 v41, v41, v9, -v44
	v_sub_f16_e32 v42, v38, v42
	v_sub_f16_e32 v41, v33, v41
	s_waitcnt lgkmcnt(0)
	v_lshrrev_b32_e32 v45, 16, v12
	v_mul_f16_sdwa v46, v45, v10 dst_sel:DWORD dst_unused:UNUSED_PAD src0_sel:DWORD src1_sel:WORD_1
	v_fma_f16 v46, v12, v10, v46
	v_mul_f16_sdwa v12, v12, v10 dst_sel:DWORD dst_unused:UNUSED_PAD src0_sel:DWORD src1_sel:WORD_1
	v_fma_f16 v43, v45, v10, -v12
	global_load_dwordx3 v[8:10], v21, s[8:9] offset:48
	v_lshrrev_b32_e32 v47, 16, v13
	v_mul_f16_sdwa v48, v47, v11 dst_sel:DWORD dst_unused:UNUSED_PAD src0_sel:DWORD src1_sel:WORD_1
	v_fma_f16 v48, v13, v11, v48
	v_mul_f16_sdwa v13, v13, v11 dst_sel:DWORD dst_unused:UNUSED_PAD src0_sel:DWORD src1_sel:WORD_1
	v_fma_f16 v13, v47, v11, -v13
	ds_read2_b32 v[11:12], v14 offset0:95 offset1:122
	v_sub_f16_e32 v13, v35, v13
	v_sub_f16_e32 v47, v40, v48
	v_fma_f16 v35, v35, 2.0, -v13
	v_fma_f16 v40, v40, 2.0, -v47
	s_waitcnt lgkmcnt(0)
	v_lshrrev_b32_e32 v44, 16, v11
	v_fma_f16 v38, v38, 2.0, -v42
	v_fma_f16 v33, v33, 2.0, -v41
	v_sub_f16_e32 v32, v36, v32
	v_sub_f16_e32 v20, v37, v20
	;; [unrolled: 1-line block ×3, first 2 shown]
	v_fma_f16 v36, v36, 2.0, -v32
	v_fma_f16 v37, v37, 2.0, -v20
	;; [unrolled: 1-line block ×3, first 2 shown]
	s_waitcnt vmcnt(0)
	v_mul_f16_sdwa v21, v11, v8 dst_sel:DWORD dst_unused:UNUSED_PAD src0_sel:DWORD src1_sel:WORD_1
	v_fma_f16 v21, v44, v8, -v21
	v_mul_f16_sdwa v44, v44, v8 dst_sel:DWORD dst_unused:UNUSED_PAD src0_sel:DWORD src1_sel:WORD_1
	v_fma_f16 v8, v11, v8, v44
	v_lshrrev_b32_e32 v11, 16, v12
	v_mul_f16_sdwa v44, v11, v9 dst_sel:DWORD dst_unused:UNUSED_PAD src0_sel:DWORD src1_sel:WORD_1
	v_fma_f16 v44, v12, v9, v44
	v_mul_f16_sdwa v12, v12, v9 dst_sel:DWORD dst_unused:UNUSED_PAD src0_sel:DWORD src1_sel:WORD_1
	v_fma_f16 v9, v11, v9, -v12
	ds_read_b32 v11, v1 offset:1620
	v_sub_f16_e32 v9, v16, v9
	v_sub_f16_e32 v44, v30, v44
	v_fma_f16 v16, v16, 2.0, -v9
	v_add_f16_e32 v9, v42, v9
	s_waitcnt lgkmcnt(0)
	v_lshrrev_b32_e32 v12, 16, v11
	v_mul_f16_sdwa v45, v12, v10 dst_sel:DWORD dst_unused:UNUSED_PAD src0_sel:DWORD src1_sel:WORD_1
	v_fma_f16 v45, v11, v10, v45
	v_mul_f16_sdwa v11, v11, v10 dst_sel:DWORD dst_unused:UNUSED_PAD src0_sel:DWORD src1_sel:WORD_1
	v_fma_f16 v10, v12, v10, -v11
	ds_read_b32 v11, v25
	v_fma_f16 v30, v30, 2.0, -v44
	v_sub_f16_e32 v44, v41, v44
	v_fma_f16 v42, v42, 2.0, -v9
	v_fma_f16 v41, v41, 2.0, -v44
	s_waitcnt lgkmcnt(0)
	v_sub_f16_e32 v12, v11, v39
	v_lshrrev_b32_e32 v39, 16, v11
	v_sub_f16_e32 v18, v39, v18
	v_add_f16_e32 v13, v12, v13
	v_fma_f16 v11, v11, 2.0, -v12
	v_sub_f16_e32 v47, v18, v47
	v_fma_f16 v12, v12, 2.0, -v13
	v_fma_f16 v39, v39, 2.0, -v18
	;; [unrolled: 1-line block ×3, first 2 shown]
	v_fma_f16 v48, v42, s2, v12
	v_fma_f16 v48, v41, s3, v48
	;; [unrolled: 1-line block ×4, first 2 shown]
	v_sub_f16_e32 v21, v15, v21
	v_sub_f16_e32 v42, v19, v46
	;; [unrolled: 1-line block ×4, first 2 shown]
	v_fma_f16 v15, v15, 2.0, -v21
	v_sub_f16_e32 v45, v31, v45
	v_fma_f16 v17, v17, 2.0, -v10
	v_add_f16_e32 v21, v32, v21
	v_add_f16_e32 v10, v42, v10
	v_fma_f16 v29, v29, 2.0, -v8
	v_fma_f16 v19, v19, 2.0, -v42
	;; [unrolled: 1-line block ×3, first 2 shown]
	v_sub_f16_e32 v8, v20, v8
	v_fma_f16 v32, v32, 2.0, -v21
	v_sub_f16_e32 v45, v43, v45
	v_fma_f16 v42, v42, 2.0, -v10
	v_fma_f16 v20, v20, 2.0, -v8
	v_fma_f16 v43, v43, 2.0, -v45
	v_fma_f16 v46, v42, s2, v32
	v_fma_f16 v46, v43, s3, v46
	;; [unrolled: 1-line block ×4, first 2 shown]
	v_fma_f16 v12, v12, 2.0, -v48
	v_fma_f16 v32, v32, 2.0, -v46
	;; [unrolled: 1-line block ×4, first 2 shown]
	v_fma_f16 v43, v32, s5, v12
	v_fma_f16 v43, v20, s6, v43
	v_fma_f16 v20, v20, s5, v18
	v_fma_f16 v20, v32, s7, v20
	v_sub_f16_e32 v6, v11, v40
	v_sub_f16_e32 v32, v39, v35
	;; [unrolled: 1-line block ×8, first 2 shown]
	v_fma_f16 v11, v11, 2.0, -v6
	v_fma_f16 v35, v39, 2.0, -v32
	;; [unrolled: 1-line block ×8, first 2 shown]
	v_sub_f16_e32 v38, v11, v38
	v_sub_f16_e32 v33, v35, v33
	;; [unrolled: 1-line block ×4, first 2 shown]
	v_fma_f16 v11, v11, 2.0, -v38
	v_fma_f16 v35, v35, 2.0, -v33
	;; [unrolled: 1-line block ×4, first 2 shown]
	v_sub_f16_e32 v36, v11, v36
	v_sub_f16_e32 v37, v35, v37
	v_fma_f16 v11, v11, 2.0, -v36
	v_fma_f16 v35, v35, 2.0, -v37
	;; [unrolled: 1-line block ×4, first 2 shown]
	v_pack_b32_f16 v11, v11, v35
	v_pack_b32_f16 v12, v12, v18
	v_add3_u32 v18, 0, v4, v24
	v_fma_f16 v4, v9, s3, v13
	s_waitcnt lgkmcnt(0)
	; wave barrier
	ds_write2_b32 v18, v11, v12 offset1:3
	v_fma_f16 v11, v44, s3, v4
	v_fma_f16 v4, v44, s3, v47
	;; [unrolled: 1-line block ×6, first 2 shown]
	v_add_f16_e32 v16, v6, v16
	v_add_f16_e32 v17, v29, v17
	v_fma_f16 v10, v10, s2, v4
	v_sub_f16_e32 v30, v32, v30
	v_fma_f16 v4, v6, 2.0, -v16
	v_sub_f16_e32 v31, v15, v31
	v_fma_f16 v29, v29, 2.0, -v17
	v_fma_f16 v6, v32, 2.0, -v30
	;; [unrolled: 1-line block ×3, first 2 shown]
	v_fma_f16 v32, v29, s2, v4
	v_fma_f16 v32, v15, s3, v32
	;; [unrolled: 1-line block ×3, first 2 shown]
	v_fma_f16 v13, v13, 2.0, -v11
	v_fma_f16 v21, v21, 2.0, -v12
	v_fma_f16 v15, v29, s2, v15
	v_fma_f16 v29, v47, 2.0, -v9
	v_fma_f16 v8, v8, 2.0, -v10
	v_fma_f16 v35, v21, s7, v13
	v_fma_f16 v35, v8, s10, v35
	;; [unrolled: 1-line block ×4, first 2 shown]
	v_fma_f16 v4, v4, 2.0, -v32
	v_fma_f16 v6, v6, 2.0, -v15
	v_pack_b32_f16 v4, v4, v6
	v_fma_f16 v6, v13, 2.0, -v35
	v_fma_f16 v13, v29, 2.0, -v8
	v_pack_b32_f16 v6, v6, v13
	ds_write2_b32 v18, v4, v6 offset0:6 offset1:9
	v_fma_f16 v4, v46, s6, v48
	v_fma_f16 v6, v42, s10, v4
	;; [unrolled: 1-line block ×3, first 2 shown]
	v_add_f16_e32 v21, v38, v34
	v_sub_f16_e32 v19, v33, v19
	v_fma_f16 v13, v46, s5, v4
	v_fma_f16 v4, v38, 2.0, -v21
	v_fma_f16 v29, v33, 2.0, -v19
	v_pack_b32_f16 v4, v4, v29
	v_fma_f16 v29, v48, 2.0, -v6
	v_fma_f16 v33, v41, 2.0, -v13
	v_pack_b32_f16 v29, v29, v33
	ds_write2_b32 v18, v4, v29 offset0:12 offset1:15
	v_fma_f16 v4, v17, s3, v16
	v_fma_f16 v29, v31, s3, v4
	;; [unrolled: 1-line block ×8, first 2 shown]
	v_fma_f16 v10, v16, 2.0, -v29
	v_fma_f16 v12, v30, 2.0, -v17
	;; [unrolled: 1-line block ×4, first 2 shown]
	v_pack_b32_f16 v10, v10, v12
	v_pack_b32_f16 v9, v11, v9
	ds_write2_b32 v18, v10, v9 offset0:18 offset1:21
	v_pack_b32_f16 v9, v36, v37
	v_pack_b32_f16 v10, v43, v20
	ds_write2_b32 v18, v9, v10 offset0:24 offset1:27
	;; [unrolled: 3-line block ×5, first 2 shown]
	s_waitcnt lgkmcnt(0)
	; wave barrier
	s_waitcnt lgkmcnt(0)
	ds_read_b32 v34, v25
	ds_read2_b32 v[20:21], v1 offset0:144 offset1:171
	ds_read2_b32 v[12:13], v7 offset0:124 offset1:160
	;; [unrolled: 1-line block ×7, first 2 shown]
	v_lshrrev_b32_e32 v35, 16, v28
	s_and_saveexec_b64 s[2:3], s[0:1]
	s_cbranch_execz .LBB0_21
; %bb.20:
	ds_read2_b32 v[4:5], v7 offset0:7 offset1:151
	ds_read_b32 v35, v1 offset:1692
	s_waitcnt lgkmcnt(1)
	v_lshrrev_b32_e32 v33, 16, v4
	v_lshrrev_b32_e32 v28, 16, v5
	s_waitcnt lgkmcnt(0)
	v_lshrrev_b32_e32 v27, 16, v35
.LBB0_21:
	s_or_b64 exec, exec, s[2:3]
	v_lshlrev_b32_e32 v36, 1, v0
	v_mov_b32_e32 v37, 0
	v_lshlrev_b64 v[6:7], 2, v[36:37]
	v_mov_b32_e32 v55, s9
	v_add_co_u32_e64 v6, s[2:3], s8, v6
	v_addc_co_u32_e64 v7, s[2:3], v55, v7, s[2:3]
	global_load_dwordx2 v[38:39], v[6:7], off offset:180
	s_waitcnt lgkmcnt(6)
	v_lshrrev_b32_e32 v48, 16, v20
	s_waitcnt lgkmcnt(5)
	v_lshrrev_b32_e32 v49, 16, v13
	v_add_u32_e32 v32, 27, v0
	v_cmp_gt_u32_e64 s[2:3], 21, v0
	v_lshrrev_b32_e32 v50, 16, v21
	v_add_u32_e32 v36, 12, v36
	s_waitcnt lgkmcnt(3)
	v_lshrrev_b32_e32 v51, 16, v18
	s_waitcnt lgkmcnt(2)
	v_lshrrev_b32_e32 v52, 16, v16
	v_lshrrev_b32_e32 v53, 16, v19
	v_add_u32_e32 v31, 0x51, v0
	v_lshrrev_b32_e32 v54, 16, v17
	s_waitcnt lgkmcnt(0)
	v_lshrrev_b32_e32 v44, 16, v14
	v_add_u32_e32 v30, 0x6c, v0
	v_lshrrev_b32_e32 v46, 16, v12
	v_lshrrev_b32_e32 v47, 16, v15
	v_add_u32_e32 v29, 0x87, v0
	v_lshrrev_b32_e32 v40, 16, v34
	v_lshrrev_b32_e32 v41, 16, v10
	;; [unrolled: 1-line block ×5, first 2 shown]
	s_waitcnt vmcnt(0)
	v_mul_f16_sdwa v56, v38, v48 dst_sel:DWORD dst_unused:UNUSED_PAD src0_sel:WORD_1 src1_sel:DWORD
	v_fma_f16 v56, v38, v20, v56
	v_mul_f16_sdwa v20, v38, v20 dst_sel:DWORD dst_unused:UNUSED_PAD src0_sel:WORD_1 src1_sel:DWORD
	v_fma_f16 v48, v38, v48, -v20
	v_mul_f16_sdwa v20, v39, v49 dst_sel:DWORD dst_unused:UNUSED_PAD src0_sel:WORD_1 src1_sel:DWORD
	v_fma_f16 v57, v39, v13, v20
	v_mul_f16_sdwa v13, v39, v13 dst_sel:DWORD dst_unused:UNUSED_PAD src0_sel:WORD_1 src1_sel:DWORD
	v_fma_f16 v49, v39, v49, -v13
	v_subrev_u32_e32 v13, 21, v0
	v_cndmask_b32_e64 v58, v13, v32, s[2:3]
	v_lshlrev_b32_e32 v38, 1, v58
	v_mov_b32_e32 v39, v37
	v_lshlrev_b64 v[38:39], 2, v[38:39]
	v_add_co_u32_e64 v38, s[2:3], s8, v38
	v_addc_co_u32_e64 v39, s[2:3], v55, v39, s[2:3]
	global_load_dwordx2 v[38:39], v[38:39], off offset:180
	s_waitcnt vmcnt(0)
	v_mul_f16_sdwa v13, v38, v50 dst_sel:DWORD dst_unused:UNUSED_PAD src0_sel:WORD_1 src1_sel:DWORD
	v_fma_f16 v59, v38, v21, v13
	v_mul_f16_sdwa v13, v38, v21 dst_sel:DWORD dst_unused:UNUSED_PAD src0_sel:WORD_1 src1_sel:DWORD
	v_lshlrev_b64 v[20:21], 2, v[36:37]
	v_fma_f16 v38, v38, v50, -v13
	v_add_co_u32_e64 v20, s[2:3], s8, v20
	v_addc_co_u32_e64 v21, s[2:3], v55, v21, s[2:3]
	global_load_dwordx2 v[20:21], v[20:21], off offset:180
	v_mul_f16_sdwa v13, v39, v51 dst_sel:DWORD dst_unused:UNUSED_PAD src0_sel:WORD_1 src1_sel:DWORD
	v_fma_f16 v50, v39, v18, v13
	v_mul_f16_sdwa v13, v39, v18 dst_sel:DWORD dst_unused:UNUSED_PAD src0_sel:WORD_1 src1_sel:DWORD
	v_fma_f16 v39, v39, v51, -v13
	s_mov_b32 s2, 0xbaee
	s_movk_i32 s3, 0x3aee
	s_waitcnt vmcnt(0)
	v_mul_f16_sdwa v13, v20, v52 dst_sel:DWORD dst_unused:UNUSED_PAD src0_sel:WORD_1 src1_sel:DWORD
	v_fma_f16 v36, v20, v16, v13
	v_mul_f16_sdwa v13, v20, v16 dst_sel:DWORD dst_unused:UNUSED_PAD src0_sel:WORD_1 src1_sel:DWORD
	v_fma_f16 v16, v20, v52, -v13
	v_mul_f16_sdwa v13, v21, v53 dst_sel:DWORD dst_unused:UNUSED_PAD src0_sel:WORD_1 src1_sel:DWORD
	v_fma_f16 v20, v21, v19, v13
	v_mul_f16_sdwa v13, v21, v19 dst_sel:DWORD dst_unused:UNUSED_PAD src0_sel:WORD_1 src1_sel:DWORD
	v_fma_f16 v21, v21, v53, -v13
	v_mul_lo_u16_sdwa v13, v31, s4 dst_sel:DWORD dst_unused:UNUSED_PAD src0_sel:BYTE_0 src1_sel:DWORD
	v_lshrrev_b16_e32 v37, 13, v13
	v_mul_lo_u16_e32 v13, 48, v37
	v_sub_u16_e32 v51, v31, v13
	v_mov_b32_e32 v52, 3
	v_lshlrev_b32_sdwa v13, v52, v51 dst_sel:DWORD dst_unused:UNUSED_PAD src0_sel:DWORD src1_sel:BYTE_0
	global_load_dwordx2 v[18:19], v13, s[8:9] offset:180
	s_waitcnt vmcnt(0)
	v_mul_f16_sdwa v13, v18, v54 dst_sel:DWORD dst_unused:UNUSED_PAD src0_sel:WORD_1 src1_sel:DWORD
	v_fma_f16 v53, v18, v17, v13
	v_mul_f16_sdwa v13, v18, v17 dst_sel:DWORD dst_unused:UNUSED_PAD src0_sel:WORD_1 src1_sel:DWORD
	v_fma_f16 v17, v18, v54, -v13
	v_mul_f16_sdwa v13, v44, v19 dst_sel:DWORD dst_unused:UNUSED_PAD src0_sel:DWORD src1_sel:WORD_1
	v_fma_f16 v18, v14, v19, v13
	v_mul_f16_sdwa v13, v14, v19 dst_sel:DWORD dst_unused:UNUSED_PAD src0_sel:DWORD src1_sel:WORD_1
	v_fma_f16 v19, v44, v19, -v13
	v_mul_lo_u16_sdwa v13, v30, s4 dst_sel:DWORD dst_unused:UNUSED_PAD src0_sel:BYTE_0 src1_sel:DWORD
	v_lshrrev_b16_e32 v13, 13, v13
	v_mul_lo_u16_e32 v13, 48, v13
	v_sub_u16_e32 v44, v30, v13
	v_lshlrev_b32_sdwa v13, v52, v44 dst_sel:DWORD dst_unused:UNUSED_PAD src0_sel:DWORD src1_sel:BYTE_0
	global_load_dwordx2 v[13:14], v13, s[8:9] offset:180
	s_waitcnt vmcnt(0)
	v_mul_f16_sdwa v54, v46, v13 dst_sel:DWORD dst_unused:UNUSED_PAD src0_sel:DWORD src1_sel:WORD_1
	v_fma_f16 v54, v12, v13, v54
	v_mul_f16_sdwa v12, v12, v13 dst_sel:DWORD dst_unused:UNUSED_PAD src0_sel:DWORD src1_sel:WORD_1
	v_fma_f16 v46, v46, v13, -v12
	v_mul_f16_sdwa v12, v47, v14 dst_sel:DWORD dst_unused:UNUSED_PAD src0_sel:DWORD src1_sel:WORD_1
	v_fma_f16 v55, v15, v14, v12
	v_mul_f16_sdwa v12, v15, v14 dst_sel:DWORD dst_unused:UNUSED_PAD src0_sel:DWORD src1_sel:WORD_1
	v_fma_f16 v15, v47, v14, -v12
	v_mul_lo_u16_sdwa v12, v29, s4 dst_sel:DWORD dst_unused:UNUSED_PAD src0_sel:BYTE_0 src1_sel:DWORD
	v_lshrrev_b16_e32 v12, 13, v12
	v_mul_lo_u16_e32 v12, 48, v12
	v_sub_u16_e32 v12, v29, v12
	v_lshlrev_b32_sdwa v13, v52, v12 dst_sel:DWORD dst_unused:UNUSED_PAD src0_sel:DWORD src1_sel:BYTE_0
	global_load_dwordx2 v[13:14], v13, s[8:9] offset:180
	s_waitcnt lgkmcnt(0)
	; wave barrier
	s_movk_i32 s4, 0x240
	s_waitcnt vmcnt(0)
	v_mul_f16_sdwa v47, v28, v13 dst_sel:DWORD dst_unused:UNUSED_PAD src0_sel:DWORD src1_sel:WORD_1
	v_fma_f16 v47, v5, v13, v47
	v_mul_f16_sdwa v5, v5, v13 dst_sel:DWORD dst_unused:UNUSED_PAD src0_sel:DWORD src1_sel:WORD_1
	v_fma_f16 v5, v28, v13, -v5
	v_mul_f16_sdwa v13, v27, v14 dst_sel:DWORD dst_unused:UNUSED_PAD src0_sel:DWORD src1_sel:WORD_1
	v_mul_f16_sdwa v28, v35, v14 dst_sel:DWORD dst_unused:UNUSED_PAD src0_sel:DWORD src1_sel:WORD_1
	v_fma_f16 v13, v35, v14, v13
	v_fma_f16 v14, v27, v14, -v28
	v_add_f16_e32 v27, v34, v56
	v_add_f16_e32 v35, v27, v57
	v_add_f16_e32 v27, v56, v57
	v_fma_f16 v27, v27, -0.5, v34
	v_sub_f16_e32 v28, v48, v49
	v_fma_f16 v52, v28, s2, v27
	v_fma_f16 v60, v28, s3, v27
	v_add_f16_e32 v27, v40, v48
	v_add_f16_e32 v61, v27, v49
	v_add_f16_e32 v27, v48, v49
	v_fma_f16 v27, v27, -0.5, v40
	v_sub_f16_e32 v28, v56, v57
	v_fma_f16 v40, v28, s3, v27
	v_fma_f16 v48, v28, s2, v27
	;; [unrolled: 7-line block ×5, first 2 shown]
	v_add_f16_e32 v27, v42, v16
	v_add_f16_e32 v16, v16, v21
	;; [unrolled: 1-line block ×3, first 2 shown]
	v_fma_f16 v16, v16, -0.5, v42
	v_sub_f16_e32 v20, v36, v20
	v_add_f16_e32 v27, v53, v18
	v_fma_f16 v21, v20, s3, v16
	v_fma_f16 v16, v20, s2, v16
	v_add_f16_e32 v20, v8, v53
	v_fma_f16 v8, v27, -0.5, v8
	v_sub_f16_e32 v27, v17, v19
	v_fma_f16 v36, v27, s2, v8
	v_fma_f16 v42, v27, s3, v8
	v_add_f16_e32 v8, v43, v17
	v_add_f16_e32 v62, v8, v19
	;; [unrolled: 1-line block ×3, first 2 shown]
	v_fma_f16 v8, v8, -0.5, v43
	v_sub_f16_e32 v17, v53, v18
	v_add_f16_e32 v20, v20, v18
	v_fma_f16 v18, v17, s3, v8
	v_fma_f16 v17, v17, s2, v8
	v_add_f16_e32 v8, v9, v54
	v_add_f16_e32 v19, v8, v55
	;; [unrolled: 1-line block ×3, first 2 shown]
	v_fma_f16 v8, v8, -0.5, v9
	v_sub_f16_e32 v9, v46, v15
	v_fma_f16 v43, v9, s2, v8
	v_fma_f16 v53, v9, s3, v8
	v_add_f16_e32 v8, v45, v46
	v_add_f16_e32 v63, v8, v15
	;; [unrolled: 1-line block ×3, first 2 shown]
	v_fma_f16 v8, v8, -0.5, v45
	v_sub_f16_e32 v9, v54, v55
	v_fma_f16 v15, v9, s3, v8
	v_fma_f16 v45, v9, s2, v8
	v_add_f16_e32 v9, v47, v13
	v_add_f16_e32 v8, v4, v47
	v_fma_f16 v4, v9, -0.5, v4
	v_sub_f16_e32 v27, v5, v14
	v_fma_f16 v9, v27, s2, v4
	v_fma_f16 v28, v27, s3, v4
	v_add_f16_e32 v4, v33, v5
	v_add_f16_e32 v27, v4, v14
	;; [unrolled: 1-line block ×3, first 2 shown]
	v_fma_f16 v4, v4, -0.5, v33
	v_sub_f16_e32 v5, v47, v13
	v_fma_f16 v33, v5, s3, v4
	v_fma_f16 v34, v5, s2, v4
	v_pack_b32_f16 v4, v35, v61
	v_pack_b32_f16 v5, v52, v40
	ds_write2_b32 v1, v4, v5 offset1:48
	v_pack_b32_f16 v4, v60, v48
	ds_write_b32 v1, v4 offset:384
	v_cmp_lt_u32_e64 s[2:3], 20, v0
	v_mov_b32_e32 v4, 0x240
	v_cndmask_b32_e64 v4, 0, v4, s[2:3]
	v_add_u32_e32 v4, 0, v4
	v_lshlrev_b32_e32 v5, 2, v58
	v_add_f16_e32 v8, v8, v13
	v_add3_u32 v4, v4, v5, v24
	v_pack_b32_f16 v5, v49, v57
	v_pack_b32_f16 v13, v56, v38
	ds_write2_b32 v4, v5, v13 offset1:48
	v_pack_b32_f16 v5, v10, v39
	ds_write_b32 v4, v5 offset:384
	v_pack_b32_f16 v4, v41, v59
	v_pack_b32_f16 v5, v50, v21
	ds_write2_b32 v1, v4, v5 offset0:150 offset1:198
	v_pack_b32_f16 v4, v11, v16
	ds_write_b32 v1, v4 offset:984
	v_mov_b32_e32 v4, 2
	v_mad_u32_u24 v5, v37, s4, 0
	v_lshlrev_b32_sdwa v10, v4, v51 dst_sel:DWORD dst_unused:UNUSED_PAD src0_sel:DWORD src1_sel:BYTE_0
	v_add3_u32 v5, v5, v10, v24
	v_pack_b32_f16 v10, v20, v62
	v_pack_b32_f16 v11, v36, v18
	ds_write2_b32 v5, v10, v11 offset1:48
	v_pack_b32_f16 v10, v42, v17
	ds_write_b32 v5, v10 offset:384
	v_lshlrev_b32_sdwa v5, v4, v44 dst_sel:DWORD dst_unused:UNUSED_PAD src0_sel:DWORD src1_sel:BYTE_0
	v_add3_u32 v5, 0, v5, v24
	v_pack_b32_f16 v10, v19, v63
	v_pack_b32_f16 v11, v43, v15
	v_add_u32_e32 v13, 0x400, v5
	ds_write2_b32 v13, v10, v11 offset0:32 offset1:80
	v_pack_b32_f16 v10, v53, v45
	ds_write_b32 v5, v10 offset:1536
	s_and_saveexec_b64 s[2:3], s[0:1]
	s_cbranch_execz .LBB0_23
; %bb.22:
	v_lshlrev_b32_sdwa v4, v4, v12 dst_sel:DWORD dst_unused:UNUSED_PAD src0_sel:DWORD src1_sel:BYTE_0
	v_add3_u32 v4, 0, v4, v24
	s_mov_b32 s4, 0x5040100
	v_perm_b32 v5, v27, v8, s4
	v_perm_b32 v10, v33, v9, s4
	v_add_u32_e32 v11, 0x400, v4
	ds_write2_b32 v11, v5, v10 offset0:32 offset1:80
	v_perm_b32 v5, v34, v28, s4
	ds_write_b32 v4, v5 offset:1536
.LBB0_23:
	s_or_b64 exec, exec, s[2:3]
	s_waitcnt lgkmcnt(0)
	; wave barrier
	s_waitcnt lgkmcnt(0)
	ds_read_b32 v24, v25
	ds_read2_b32 v[20:21], v1 offset0:144 offset1:171
	v_add_u32_e32 v25, 0x200, v1
	v_add_u32_e32 v14, 0x400, v1
	ds_read2_b32 v[12:13], v25 offset0:124 offset1:160
	ds_read2_b32 v[10:11], v1 offset0:27 offset1:54
	;; [unrolled: 1-line block ×6, first 2 shown]
	s_and_saveexec_b64 s[2:3], s[0:1]
	s_cbranch_execz .LBB0_25
; %bb.24:
	ds_read2_b32 v[8:9], v25 offset0:7 offset1:151
	ds_read_b32 v28, v1 offset:1692
	s_waitcnt lgkmcnt(1)
	v_lshrrev_b32_e32 v27, 16, v8
	v_lshrrev_b32_e32 v33, 16, v9
	s_waitcnt lgkmcnt(0)
	v_lshrrev_b32_e32 v34, 16, v28
.LBB0_25:
	s_or_b64 exec, exec, s[2:3]
	global_load_dwordx2 v[35:36], v[6:7], off offset:564
	v_lshlrev_b32_e32 v6, 1, v32
	v_mov_b32_e32 v7, 0
	v_lshlrev_b64 v[37:38], 2, v[6:7]
	v_mov_b32_e32 v6, 0x6c
	v_lshl_add_u32 v6, v0, 1, v6
	v_mov_b32_e32 v25, s9
	v_add_co_u32_e64 v37, s[2:3], s8, v37
	v_lshlrev_b64 v[39:40], 2, v[6:7]
	v_addc_co_u32_e64 v38, s[2:3], v25, v38, s[2:3]
	v_lshlrev_b32_e32 v6, 1, v31
	v_add_co_u32_e64 v39, s[2:3], s8, v39
	v_lshlrev_b64 v[31:32], 2, v[6:7]
	v_addc_co_u32_e64 v40, s[2:3], v25, v40, s[2:3]
	v_lshlrev_b32_e32 v6, 1, v30
	v_add_co_u32_e64 v31, s[2:3], s8, v31
	v_lshlrev_b64 v[41:42], 2, v[6:7]
	v_addc_co_u32_e64 v32, s[2:3], v25, v32, s[2:3]
	global_load_dwordx2 v[37:38], v[37:38], off offset:564
	v_add_co_u32_e64 v41, s[2:3], s8, v41
	global_load_dwordx2 v[39:40], v[39:40], off offset:564
	v_addc_co_u32_e64 v42, s[2:3], v25, v42, s[2:3]
	global_load_dwordx2 v[41:42], v[41:42], off offset:564
	s_waitcnt lgkmcnt(5)
	v_lshrrev_b32_e32 v52, 16, v13
	global_load_dwordx2 v[31:32], v[31:32], off offset:564
	v_lshrrev_b32_e32 v53, 16, v20
	s_waitcnt lgkmcnt(3)
	v_lshrrev_b32_e32 v50, 16, v18
	v_lshrrev_b32_e32 v51, 16, v21
	;; [unrolled: 1-line block ×3, first 2 shown]
	s_waitcnt lgkmcnt(2)
	v_lshrrev_b32_e32 v49, 16, v16
	s_waitcnt lgkmcnt(0)
	v_lshrrev_b32_e32 v44, 16, v14
	v_lshl_add_u32 v23, v23, 2, v26
	v_lshrrev_b32_e32 v26, 16, v17
	v_lshrrev_b32_e32 v46, 16, v12
	;; [unrolled: 1-line block ×4, first 2 shown]
	s_mov_b32 s4, 0xbaee
	s_movk_i32 s5, 0x3aee
	v_lshrrev_b32_e32 v25, 16, v10
	v_lshrrev_b32_e32 v30, 16, v11
	;; [unrolled: 1-line block ×4, first 2 shown]
	s_waitcnt lgkmcnt(0)
	; wave barrier
	s_waitcnt vmcnt(4)
	v_mul_f16_sdwa v54, v35, v53 dst_sel:DWORD dst_unused:UNUSED_PAD src0_sel:WORD_1 src1_sel:DWORD
	v_mul_f16_sdwa v55, v35, v20 dst_sel:DWORD dst_unused:UNUSED_PAD src0_sel:WORD_1 src1_sel:DWORD
	;; [unrolled: 1-line block ×4, first 2 shown]
	v_fma_f16 v20, v35, v20, v54
	v_fma_f16 v35, v35, v53, -v55
	v_fma_f16 v13, v36, v13, v56
	v_fma_f16 v36, v36, v52, -v57
	v_add_f16_e32 v52, v24, v20
	s_waitcnt vmcnt(3)
	v_mul_f16_sdwa v53, v37, v51 dst_sel:DWORD dst_unused:UNUSED_PAD src0_sel:WORD_1 src1_sel:DWORD
	v_mul_f16_sdwa v54, v37, v21 dst_sel:DWORD dst_unused:UNUSED_PAD src0_sel:WORD_1 src1_sel:DWORD
	;; [unrolled: 1-line block ×4, first 2 shown]
	v_fma_f16 v21, v37, v21, v53
	v_fma_f16 v37, v37, v51, -v54
	v_fma_f16 v18, v38, v18, v55
	v_fma_f16 v38, v38, v50, -v56
	s_waitcnt vmcnt(2)
	v_mul_f16_sdwa v50, v39, v49 dst_sel:DWORD dst_unused:UNUSED_PAD src0_sel:WORD_1 src1_sel:DWORD
	v_mul_f16_sdwa v51, v39, v16 dst_sel:DWORD dst_unused:UNUSED_PAD src0_sel:WORD_1 src1_sel:DWORD
	;; [unrolled: 1-line block ×4, first 2 shown]
	v_fma_f16 v16, v39, v16, v50
	v_fma_f16 v39, v39, v49, -v51
	v_fma_f16 v19, v40, v19, v53
	v_fma_f16 v40, v40, v48, -v54
	s_waitcnt vmcnt(0)
	v_mul_f16_sdwa v48, v31, v26 dst_sel:DWORD dst_unused:UNUSED_PAD src0_sel:WORD_1 src1_sel:DWORD
	v_mul_f16_sdwa v49, v31, v17 dst_sel:DWORD dst_unused:UNUSED_PAD src0_sel:WORD_1 src1_sel:DWORD
	v_mul_f16_sdwa v50, v44, v32 dst_sel:DWORD dst_unused:UNUSED_PAD src0_sel:DWORD src1_sel:WORD_1
	v_mul_f16_sdwa v51, v14, v32 dst_sel:DWORD dst_unused:UNUSED_PAD src0_sel:DWORD src1_sel:WORD_1
	v_fma_f16 v17, v31, v17, v48
	v_fma_f16 v26, v31, v26, -v49
	v_fma_f16 v14, v14, v32, v50
	v_fma_f16 v31, v44, v32, -v51
	v_mul_f16_sdwa v32, v46, v41 dst_sel:DWORD dst_unused:UNUSED_PAD src0_sel:DWORD src1_sel:WORD_1
	v_mul_f16_sdwa v44, v12, v41 dst_sel:DWORD dst_unused:UNUSED_PAD src0_sel:DWORD src1_sel:WORD_1
	v_fma_f16 v12, v12, v41, v32
	v_fma_f16 v32, v46, v41, -v44
	v_add_f16_e32 v44, v20, v13
	v_fma_f16 v24, v44, -0.5, v24
	v_sub_f16_e32 v44, v35, v36
	v_mul_f16_sdwa v48, v47, v42 dst_sel:DWORD dst_unused:UNUSED_PAD src0_sel:DWORD src1_sel:WORD_1
	v_mul_f16_sdwa v49, v15, v42 dst_sel:DWORD dst_unused:UNUSED_PAD src0_sel:DWORD src1_sel:WORD_1
	v_fma_f16 v46, v44, s4, v24
	v_fma_f16 v24, v44, s5, v24
	v_add_f16_e32 v44, v6, v35
	v_add_f16_e32 v35, v35, v36
	v_fma_f16 v15, v15, v42, v48
	v_fma_f16 v41, v47, v42, -v49
	v_add_f16_e32 v42, v52, v13
	v_fma_f16 v6, v35, -0.5, v6
	v_sub_f16_e32 v13, v20, v13
	v_add_f16_e32 v35, v21, v18
	v_fma_f16 v20, v13, s5, v6
	v_fma_f16 v6, v13, s4, v6
	v_add_f16_e32 v13, v10, v21
	v_fma_f16 v10, v35, -0.5, v10
	v_sub_f16_e32 v35, v37, v38
	v_add_f16_e32 v44, v44, v36
	v_fma_f16 v36, v35, s4, v10
	v_fma_f16 v10, v35, s5, v10
	v_add_f16_e32 v35, v25, v37
	v_add_f16_e32 v37, v37, v38
	;; [unrolled: 1-line block ×3, first 2 shown]
	v_fma_f16 v25, v37, -0.5, v25
	v_sub_f16_e32 v18, v21, v18
	v_add_f16_e32 v37, v16, v19
	v_fma_f16 v21, v18, s5, v25
	v_fma_f16 v18, v18, s4, v25
	v_add_f16_e32 v25, v11, v16
	v_fma_f16 v11, v37, -0.5, v11
	v_sub_f16_e32 v37, v39, v40
	v_add_f16_e32 v35, v35, v38
	v_fma_f16 v38, v37, s4, v11
	v_fma_f16 v11, v37, s5, v11
	v_add_f16_e32 v37, v30, v39
	v_add_f16_e32 v39, v39, v40
	v_fma_f16 v30, v39, -0.5, v30
	v_sub_f16_e32 v16, v16, v19
	v_add_f16_e32 v39, v17, v14
	v_add_f16_e32 v25, v25, v19
	v_fma_f16 v19, v16, s5, v30
	v_fma_f16 v16, v16, s4, v30
	v_add_f16_e32 v30, v4, v17
	v_fma_f16 v4, v39, -0.5, v4
	v_sub_f16_e32 v39, v26, v31
	v_add_f16_e32 v37, v37, v40
	v_fma_f16 v40, v39, s4, v4
	v_fma_f16 v4, v39, s5, v4
	v_add_f16_e32 v39, v43, v26
	v_add_f16_e32 v26, v26, v31
	;; [unrolled: 1-line block ×4, first 2 shown]
	v_fma_f16 v26, v26, -0.5, v43
	v_sub_f16_e32 v14, v17, v14
	v_add_f16_e32 v31, v12, v15
	v_fma_f16 v17, v14, s5, v26
	v_fma_f16 v14, v14, s4, v26
	v_add_f16_e32 v26, v5, v12
	v_fma_f16 v5, v31, -0.5, v5
	v_sub_f16_e32 v31, v32, v41
	v_fma_f16 v43, v31, s4, v5
	v_fma_f16 v5, v31, s5, v5
	v_add_f16_e32 v31, v45, v32
	v_add_f16_e32 v32, v32, v41
	v_fma_f16 v32, v32, -0.5, v45
	v_sub_f16_e32 v12, v12, v15
	v_pack_b32_f16 v6, v24, v6
	v_add_f16_e32 v26, v26, v15
	v_fma_f16 v15, v12, s5, v32
	v_fma_f16 v12, v12, s4, v32
	v_pack_b32_f16 v32, v42, v44
	ds_write_b32 v1, v6 offset:1152
	v_pack_b32_f16 v6, v13, v35
	ds_write2_b32 v1, v32, v6 offset1:27
	v_pack_b32_f16 v6, v36, v21
	v_pack_b32_f16 v10, v10, v18
	;; [unrolled: 1-line block ×3, first 2 shown]
	v_add_f16_e32 v31, v31, v41
	ds_write2_b32 v23, v6, v18 offset0:171 offset1:198
	v_pack_b32_f16 v6, v11, v16
	v_add_u32_e32 v11, 0x400, v23
	v_pack_b32_f16 v20, v46, v20
	v_pack_b32_f16 v13, v25, v37
	ds_write2_b32 v11, v10, v6 offset0:59 offset1:86
	v_pack_b32_f16 v6, v30, v39
	v_pack_b32_f16 v10, v26, v31
	ds_write2_b32 v1, v13, v6 offset0:54 offset1:81
	v_pack_b32_f16 v6, v40, v17
	v_pack_b32_f16 v4, v4, v14
	ds_write2_b32 v1, v10, v20 offset0:108 offset1:144
	v_pack_b32_f16 v10, v43, v15
	v_pack_b32_f16 v5, v5, v12
	ds_write2_b32 v23, v6, v10 offset0:225 offset1:252
	ds_write2_b32 v11, v4, v5 offset0:113 offset1:140
	s_and_saveexec_b64 s[2:3], s[0:1]
	s_cbranch_execz .LBB0_27
; %bb.26:
	v_add_u32_e32 v4, -9, v0
	v_cndmask_b32_e64 v4, v4, v29, s[0:1]
	v_lshlrev_b32_e32 v6, 1, v4
	v_lshlrev_b64 v[4:5], 2, v[6:7]
	v_mov_b32_e32 v6, s9
	v_add_co_u32_e64 v4, s[0:1], s8, v4
	v_addc_co_u32_e64 v5, s[0:1], v6, v5, s[0:1]
	global_load_dwordx2 v[4:5], v[4:5], off offset:564
	v_add_u32_e32 v6, 0x200, v1
	s_waitcnt vmcnt(0)
	v_mul_f16_sdwa v7, v28, v5 dst_sel:DWORD dst_unused:UNUSED_PAD src0_sel:DWORD src1_sel:WORD_1
	v_mul_f16_sdwa v10, v9, v4 dst_sel:DWORD dst_unused:UNUSED_PAD src0_sel:DWORD src1_sel:WORD_1
	v_mul_f16_sdwa v11, v33, v4 dst_sel:DWORD dst_unused:UNUSED_PAD src0_sel:DWORD src1_sel:WORD_1
	v_mul_f16_sdwa v12, v34, v5 dst_sel:DWORD dst_unused:UNUSED_PAD src0_sel:DWORD src1_sel:WORD_1
	v_fma_f16 v7, v34, v5, -v7
	v_fma_f16 v10, v33, v4, -v10
	v_fma_f16 v4, v9, v4, v11
	v_fma_f16 v5, v28, v5, v12
	v_add_f16_e32 v9, v27, v10
	v_add_f16_e32 v11, v8, v4
	;; [unrolled: 1-line block ×3, first 2 shown]
	v_sub_f16_e32 v13, v4, v5
	v_add_f16_e32 v4, v4, v5
	v_sub_f16_e32 v10, v10, v7
	v_add_f16_e32 v7, v9, v7
	v_fma_f16 v9, v12, -0.5, v27
	v_fma_f16 v4, v4, -0.5, v8
	v_add_f16_e32 v5, v11, v5
	v_fma_f16 v8, v13, s4, v9
	v_fma_f16 v9, v13, s5, v9
	;; [unrolled: 1-line block ×4, first 2 shown]
	v_pack_b32_f16 v5, v5, v7
	v_pack_b32_f16 v4, v4, v9
	;; [unrolled: 1-line block ×3, first 2 shown]
	ds_write2_b32 v6, v5, v4 offset0:7 offset1:151
	ds_write_b32 v1, v7 offset:1692
.LBB0_27:
	s_or_b64 exec, exec, s[2:3]
	s_waitcnt lgkmcnt(0)
	; wave barrier
	s_waitcnt lgkmcnt(0)
	s_and_saveexec_b64 s[0:1], vcc
	s_cbranch_execz .LBB0_29
; %bb.28:
	v_lshl_add_u32 v6, v0, 2, v22
	v_mov_b32_e32 v1, 0
	ds_read2_b32 v[4:5], v6 offset1:27
	v_mov_b32_e32 v7, s13
	v_add_co_u32_e32 v8, vcc, s12, v2
	v_addc_co_u32_e32 v7, vcc, v7, v3, vcc
	v_lshlrev_b64 v[2:3], 2, v[0:1]
	v_add_co_u32_e32 v2, vcc, v8, v2
	v_addc_co_u32_e32 v3, vcc, v7, v3, vcc
	s_waitcnt lgkmcnt(0)
	global_store_dword v[2:3], v4, off
	v_add_u32_e32 v2, 27, v0
	v_mov_b32_e32 v3, v1
	v_lshlrev_b64 v[2:3], 2, v[2:3]
	v_add_co_u32_e32 v2, vcc, v8, v2
	v_addc_co_u32_e32 v3, vcc, v7, v3, vcc
	global_store_dword v[2:3], v5, off
	v_add_u32_e32 v2, 54, v0
	v_mov_b32_e32 v3, v1
	ds_read2_b32 v[4:5], v6 offset0:54 offset1:81
	v_lshlrev_b64 v[2:3], 2, v[2:3]
	v_add_co_u32_e32 v2, vcc, v8, v2
	v_addc_co_u32_e32 v3, vcc, v7, v3, vcc
	s_waitcnt lgkmcnt(0)
	global_store_dword v[2:3], v4, off
	v_add_u32_e32 v2, 0x51, v0
	v_mov_b32_e32 v3, v1
	v_lshlrev_b64 v[2:3], 2, v[2:3]
	v_add_co_u32_e32 v2, vcc, v8, v2
	v_addc_co_u32_e32 v3, vcc, v7, v3, vcc
	global_store_dword v[2:3], v5, off
	v_add_u32_e32 v2, 0x6c, v0
	v_mov_b32_e32 v3, v1
	ds_read2_b32 v[4:5], v6 offset0:108 offset1:135
	;; [unrolled: 14-line block ×4, first 2 shown]
	v_lshlrev_b64 v[2:3], 2, v[2:3]
	v_add_u32_e32 v6, 0x400, v6
	v_add_co_u32_e32 v2, vcc, v8, v2
	v_addc_co_u32_e32 v3, vcc, v7, v3, vcc
	s_waitcnt lgkmcnt(0)
	global_store_dword v[2:3], v4, off
	v_add_u32_e32 v2, 0xf3, v0
	v_mov_b32_e32 v3, v1
	v_lshlrev_b64 v[2:3], 2, v[2:3]
	v_add_co_u32_e32 v2, vcc, v8, v2
	v_addc_co_u32_e32 v3, vcc, v7, v3, vcc
	global_store_dword v[2:3], v5, off
	v_add_u32_e32 v2, 0x10e, v0
	v_mov_b32_e32 v3, v1
	ds_read2_b32 v[4:5], v6 offset0:14 offset1:41
	v_lshlrev_b64 v[2:3], 2, v[2:3]
	v_add_co_u32_e32 v2, vcc, v8, v2
	v_addc_co_u32_e32 v3, vcc, v7, v3, vcc
	s_waitcnt lgkmcnt(0)
	global_store_dword v[2:3], v4, off
	v_add_u32_e32 v2, 0x129, v0
	v_mov_b32_e32 v3, v1
	v_lshlrev_b64 v[2:3], 2, v[2:3]
	v_add_co_u32_e32 v2, vcc, v8, v2
	v_addc_co_u32_e32 v3, vcc, v7, v3, vcc
	global_store_dword v[2:3], v5, off
	v_add_u32_e32 v2, 0x144, v0
	v_mov_b32_e32 v3, v1
	ds_read2_b32 v[4:5], v6 offset0:68 offset1:95
	v_lshlrev_b64 v[2:3], 2, v[2:3]
	v_add_co_u32_e32 v2, vcc, v8, v2
	v_addc_co_u32_e32 v3, vcc, v7, v3, vcc
	s_waitcnt lgkmcnt(0)
	global_store_dword v[2:3], v4, off
	v_add_u32_e32 v2, 0x15f, v0
	v_mov_b32_e32 v3, v1
	v_lshlrev_b64 v[2:3], 2, v[2:3]
	v_add_co_u32_e32 v2, vcc, v8, v2
	v_addc_co_u32_e32 v3, vcc, v7, v3, vcc
	global_store_dword v[2:3], v5, off
	v_add_u32_e32 v2, 0x17a, v0
	v_mov_b32_e32 v3, v1
	v_lshlrev_b64 v[2:3], 2, v[2:3]
	ds_read2_b32 v[4:5], v6 offset0:122 offset1:149
	v_add_u32_e32 v0, 0x195, v0
	v_add_co_u32_e32 v2, vcc, v8, v2
	v_lshlrev_b64 v[0:1], 2, v[0:1]
	v_addc_co_u32_e32 v3, vcc, v7, v3, vcc
	v_add_co_u32_e32 v0, vcc, v8, v0
	v_addc_co_u32_e32 v1, vcc, v7, v1, vcc
	s_waitcnt lgkmcnt(0)
	global_store_dword v[2:3], v4, off
	global_store_dword v[0:1], v5, off
.LBB0_29:
	s_endpgm
	.section	.rodata,"a",@progbits
	.p2align	6, 0x0
	.amdhsa_kernel fft_rtc_back_len432_factors_3_16_3_3_wgs_54_tpt_27_halfLds_half_ip_CI_unitstride_sbrr_C2R_dirReg
		.amdhsa_group_segment_fixed_size 0
		.amdhsa_private_segment_fixed_size 0
		.amdhsa_kernarg_size 88
		.amdhsa_user_sgpr_count 6
		.amdhsa_user_sgpr_private_segment_buffer 1
		.amdhsa_user_sgpr_dispatch_ptr 0
		.amdhsa_user_sgpr_queue_ptr 0
		.amdhsa_user_sgpr_kernarg_segment_ptr 1
		.amdhsa_user_sgpr_dispatch_id 0
		.amdhsa_user_sgpr_flat_scratch_init 0
		.amdhsa_user_sgpr_private_segment_size 0
		.amdhsa_uses_dynamic_stack 0
		.amdhsa_system_sgpr_private_segment_wavefront_offset 0
		.amdhsa_system_sgpr_workgroup_id_x 1
		.amdhsa_system_sgpr_workgroup_id_y 0
		.amdhsa_system_sgpr_workgroup_id_z 0
		.amdhsa_system_sgpr_workgroup_info 0
		.amdhsa_system_vgpr_workitem_id 0
		.amdhsa_next_free_vgpr 64
		.amdhsa_next_free_sgpr 22
		.amdhsa_reserve_vcc 1
		.amdhsa_reserve_flat_scratch 0
		.amdhsa_float_round_mode_32 0
		.amdhsa_float_round_mode_16_64 0
		.amdhsa_float_denorm_mode_32 3
		.amdhsa_float_denorm_mode_16_64 3
		.amdhsa_dx10_clamp 1
		.amdhsa_ieee_mode 1
		.amdhsa_fp16_overflow 0
		.amdhsa_exception_fp_ieee_invalid_op 0
		.amdhsa_exception_fp_denorm_src 0
		.amdhsa_exception_fp_ieee_div_zero 0
		.amdhsa_exception_fp_ieee_overflow 0
		.amdhsa_exception_fp_ieee_underflow 0
		.amdhsa_exception_fp_ieee_inexact 0
		.amdhsa_exception_int_div_zero 0
	.end_amdhsa_kernel
	.text
.Lfunc_end0:
	.size	fft_rtc_back_len432_factors_3_16_3_3_wgs_54_tpt_27_halfLds_half_ip_CI_unitstride_sbrr_C2R_dirReg, .Lfunc_end0-fft_rtc_back_len432_factors_3_16_3_3_wgs_54_tpt_27_halfLds_half_ip_CI_unitstride_sbrr_C2R_dirReg
                                        ; -- End function
	.section	.AMDGPU.csdata,"",@progbits
; Kernel info:
; codeLenInByte = 9796
; NumSgprs: 26
; NumVgprs: 64
; ScratchSize: 0
; MemoryBound: 0
; FloatMode: 240
; IeeeMode: 1
; LDSByteSize: 0 bytes/workgroup (compile time only)
; SGPRBlocks: 3
; VGPRBlocks: 15
; NumSGPRsForWavesPerEU: 26
; NumVGPRsForWavesPerEU: 64
; Occupancy: 4
; WaveLimiterHint : 1
; COMPUTE_PGM_RSRC2:SCRATCH_EN: 0
; COMPUTE_PGM_RSRC2:USER_SGPR: 6
; COMPUTE_PGM_RSRC2:TRAP_HANDLER: 0
; COMPUTE_PGM_RSRC2:TGID_X_EN: 1
; COMPUTE_PGM_RSRC2:TGID_Y_EN: 0
; COMPUTE_PGM_RSRC2:TGID_Z_EN: 0
; COMPUTE_PGM_RSRC2:TIDIG_COMP_CNT: 0
	.type	__hip_cuid_2e5b9a8755a460ab,@object ; @__hip_cuid_2e5b9a8755a460ab
	.section	.bss,"aw",@nobits
	.globl	__hip_cuid_2e5b9a8755a460ab
__hip_cuid_2e5b9a8755a460ab:
	.byte	0                               ; 0x0
	.size	__hip_cuid_2e5b9a8755a460ab, 1

	.ident	"AMD clang version 19.0.0git (https://github.com/RadeonOpenCompute/llvm-project roc-6.4.0 25133 c7fe45cf4b819c5991fe208aaa96edf142730f1d)"
	.section	".note.GNU-stack","",@progbits
	.addrsig
	.addrsig_sym __hip_cuid_2e5b9a8755a460ab
	.amdgpu_metadata
---
amdhsa.kernels:
  - .args:
      - .actual_access:  read_only
        .address_space:  global
        .offset:         0
        .size:           8
        .value_kind:     global_buffer
      - .offset:         8
        .size:           8
        .value_kind:     by_value
      - .actual_access:  read_only
        .address_space:  global
        .offset:         16
        .size:           8
        .value_kind:     global_buffer
      - .actual_access:  read_only
        .address_space:  global
        .offset:         24
        .size:           8
        .value_kind:     global_buffer
      - .offset:         32
        .size:           8
        .value_kind:     by_value
      - .actual_access:  read_only
        .address_space:  global
        .offset:         40
        .size:           8
        .value_kind:     global_buffer
      - .actual_access:  read_only
        .address_space:  global
        .offset:         48
        .size:           8
        .value_kind:     global_buffer
      - .offset:         56
        .size:           4
        .value_kind:     by_value
      - .actual_access:  read_only
        .address_space:  global
        .offset:         64
        .size:           8
        .value_kind:     global_buffer
      - .actual_access:  read_only
        .address_space:  global
        .offset:         72
        .size:           8
        .value_kind:     global_buffer
      - .address_space:  global
        .offset:         80
        .size:           8
        .value_kind:     global_buffer
    .group_segment_fixed_size: 0
    .kernarg_segment_align: 8
    .kernarg_segment_size: 88
    .language:       OpenCL C
    .language_version:
      - 2
      - 0
    .max_flat_workgroup_size: 54
    .name:           fft_rtc_back_len432_factors_3_16_3_3_wgs_54_tpt_27_halfLds_half_ip_CI_unitstride_sbrr_C2R_dirReg
    .private_segment_fixed_size: 0
    .sgpr_count:     26
    .sgpr_spill_count: 0
    .symbol:         fft_rtc_back_len432_factors_3_16_3_3_wgs_54_tpt_27_halfLds_half_ip_CI_unitstride_sbrr_C2R_dirReg.kd
    .uniform_work_group_size: 1
    .uses_dynamic_stack: false
    .vgpr_count:     64
    .vgpr_spill_count: 0
    .wavefront_size: 64
amdhsa.target:   amdgcn-amd-amdhsa--gfx906
amdhsa.version:
  - 1
  - 2
...

	.end_amdgpu_metadata
